;; amdgpu-corpus repo=ROCm/rocFFT kind=compiled arch=gfx1201 opt=O3
	.text
	.amdgcn_target "amdgcn-amd-amdhsa--gfx1201"
	.amdhsa_code_object_version 6
	.protected	fft_rtc_back_len2560_factors_4_4_4_10_4_wgs_128_tpt_128_halfLds_dp_ip_CI_unitstride_sbrr_dirReg ; -- Begin function fft_rtc_back_len2560_factors_4_4_4_10_4_wgs_128_tpt_128_halfLds_dp_ip_CI_unitstride_sbrr_dirReg
	.globl	fft_rtc_back_len2560_factors_4_4_4_10_4_wgs_128_tpt_128_halfLds_dp_ip_CI_unitstride_sbrr_dirReg
	.p2align	8
	.type	fft_rtc_back_len2560_factors_4_4_4_10_4_wgs_128_tpt_128_halfLds_dp_ip_CI_unitstride_sbrr_dirReg,@function
fft_rtc_back_len2560_factors_4_4_4_10_4_wgs_128_tpt_128_halfLds_dp_ip_CI_unitstride_sbrr_dirReg: ; @fft_rtc_back_len2560_factors_4_4_4_10_4_wgs_128_tpt_128_halfLds_dp_ip_CI_unitstride_sbrr_dirReg
; %bb.0:
	s_clause 0x2
	s_load_b128 s[4:7], s[0:1], 0x0
	s_load_b64 s[8:9], s[0:1], 0x50
	s_load_b64 s[10:11], s[0:1], 0x18
	v_mov_b32_e32 v3, 0
	v_mov_b32_e32 v1, 0
	v_dual_mov_b32 v2, 0 :: v_dual_mov_b32 v5, ttmp9
	s_mov_b32 s3, 0
	s_delay_alu instid0(VALU_DEP_3) | instskip(SKIP_2) | instid1(VALU_DEP_1)
	v_mov_b32_e32 v6, v3
	s_wait_kmcnt 0x0
	v_cmp_lt_u64_e64 s2, s[6:7], 2
	s_and_b32 vcc_lo, exec_lo, s2
	s_cbranch_vccnz .LBB0_8
; %bb.1:
	s_load_b64 s[14:15], s[0:1], 0x10
	v_mov_b32_e32 v1, 0
	v_mov_b32_e32 v2, 0
	s_add_nc_u64 s[12:13], s[10:11], 8
	s_mov_b64 s[16:17], 1
	s_wait_kmcnt 0x0
	s_add_nc_u64 s[14:15], s[14:15], 8
.LBB0_2:                                ; =>This Inner Loop Header: Depth=1
	s_load_b64 s[18:19], s[14:15], 0x0
                                        ; implicit-def: $vgpr7_vgpr8
	s_mov_b32 s2, exec_lo
	s_wait_kmcnt 0x0
	v_or_b32_e32 v4, s19, v6
	s_delay_alu instid0(VALU_DEP_1)
	v_cmpx_ne_u64_e32 0, v[3:4]
	s_wait_alu 0xfffe
	s_xor_b32 s20, exec_lo, s2
	s_cbranch_execz .LBB0_4
; %bb.3:                                ;   in Loop: Header=BB0_2 Depth=1
	s_cvt_f32_u32 s2, s18
	s_cvt_f32_u32 s21, s19
	s_sub_nc_u64 s[24:25], 0, s[18:19]
	s_wait_alu 0xfffe
	s_delay_alu instid0(SALU_CYCLE_1) | instskip(SKIP_1) | instid1(SALU_CYCLE_2)
	s_fmamk_f32 s2, s21, 0x4f800000, s2
	s_wait_alu 0xfffe
	v_s_rcp_f32 s2, s2
	s_delay_alu instid0(TRANS32_DEP_1) | instskip(SKIP_1) | instid1(SALU_CYCLE_2)
	s_mul_f32 s2, s2, 0x5f7ffffc
	s_wait_alu 0xfffe
	s_mul_f32 s21, s2, 0x2f800000
	s_wait_alu 0xfffe
	s_delay_alu instid0(SALU_CYCLE_2) | instskip(SKIP_1) | instid1(SALU_CYCLE_2)
	s_trunc_f32 s21, s21
	s_wait_alu 0xfffe
	s_fmamk_f32 s2, s21, 0xcf800000, s2
	s_cvt_u32_f32 s23, s21
	s_wait_alu 0xfffe
	s_delay_alu instid0(SALU_CYCLE_1) | instskip(SKIP_1) | instid1(SALU_CYCLE_2)
	s_cvt_u32_f32 s22, s2
	s_wait_alu 0xfffe
	s_mul_u64 s[26:27], s[24:25], s[22:23]
	s_wait_alu 0xfffe
	s_mul_hi_u32 s29, s22, s27
	s_mul_i32 s28, s22, s27
	s_mul_hi_u32 s2, s22, s26
	s_mul_i32 s30, s23, s26
	s_wait_alu 0xfffe
	s_add_nc_u64 s[28:29], s[2:3], s[28:29]
	s_mul_hi_u32 s21, s23, s26
	s_mul_hi_u32 s31, s23, s27
	s_add_co_u32 s2, s28, s30
	s_wait_alu 0xfffe
	s_add_co_ci_u32 s2, s29, s21
	s_mul_i32 s26, s23, s27
	s_add_co_ci_u32 s27, s31, 0
	s_wait_alu 0xfffe
	s_add_nc_u64 s[26:27], s[2:3], s[26:27]
	s_wait_alu 0xfffe
	v_add_co_u32 v4, s2, s22, s26
	s_delay_alu instid0(VALU_DEP_1) | instskip(SKIP_1) | instid1(VALU_DEP_1)
	s_cmp_lg_u32 s2, 0
	s_add_co_ci_u32 s23, s23, s27
	v_readfirstlane_b32 s22, v4
	s_wait_alu 0xfffe
	s_delay_alu instid0(VALU_DEP_1)
	s_mul_u64 s[24:25], s[24:25], s[22:23]
	s_wait_alu 0xfffe
	s_mul_hi_u32 s27, s22, s25
	s_mul_i32 s26, s22, s25
	s_mul_hi_u32 s2, s22, s24
	s_mul_i32 s28, s23, s24
	s_wait_alu 0xfffe
	s_add_nc_u64 s[26:27], s[2:3], s[26:27]
	s_mul_hi_u32 s21, s23, s24
	s_mul_hi_u32 s22, s23, s25
	s_wait_alu 0xfffe
	s_add_co_u32 s2, s26, s28
	s_add_co_ci_u32 s2, s27, s21
	s_mul_i32 s24, s23, s25
	s_add_co_ci_u32 s25, s22, 0
	s_wait_alu 0xfffe
	s_add_nc_u64 s[24:25], s[2:3], s[24:25]
	s_wait_alu 0xfffe
	v_add_co_u32 v4, s2, v4, s24
	s_delay_alu instid0(VALU_DEP_1) | instskip(SKIP_1) | instid1(VALU_DEP_1)
	s_cmp_lg_u32 s2, 0
	s_add_co_ci_u32 s2, s23, s25
	v_mul_hi_u32 v13, v5, v4
	s_wait_alu 0xfffe
	v_mad_co_u64_u32 v[7:8], null, v5, s2, 0
	v_mad_co_u64_u32 v[9:10], null, v6, v4, 0
	;; [unrolled: 1-line block ×3, first 2 shown]
	s_delay_alu instid0(VALU_DEP_3) | instskip(SKIP_1) | instid1(VALU_DEP_4)
	v_add_co_u32 v4, vcc_lo, v13, v7
	s_wait_alu 0xfffd
	v_add_co_ci_u32_e32 v7, vcc_lo, 0, v8, vcc_lo
	s_delay_alu instid0(VALU_DEP_2) | instskip(SKIP_1) | instid1(VALU_DEP_2)
	v_add_co_u32 v4, vcc_lo, v4, v9
	s_wait_alu 0xfffd
	v_add_co_ci_u32_e32 v4, vcc_lo, v7, v10, vcc_lo
	s_wait_alu 0xfffd
	v_add_co_ci_u32_e32 v7, vcc_lo, 0, v12, vcc_lo
	s_delay_alu instid0(VALU_DEP_2) | instskip(SKIP_1) | instid1(VALU_DEP_2)
	v_add_co_u32 v4, vcc_lo, v4, v11
	s_wait_alu 0xfffd
	v_add_co_ci_u32_e32 v9, vcc_lo, 0, v7, vcc_lo
	s_delay_alu instid0(VALU_DEP_2) | instskip(SKIP_1) | instid1(VALU_DEP_3)
	v_mul_lo_u32 v10, s19, v4
	v_mad_co_u64_u32 v[7:8], null, s18, v4, 0
	v_mul_lo_u32 v11, s18, v9
	s_delay_alu instid0(VALU_DEP_2) | instskip(NEXT) | instid1(VALU_DEP_2)
	v_sub_co_u32 v7, vcc_lo, v5, v7
	v_add3_u32 v8, v8, v11, v10
	s_delay_alu instid0(VALU_DEP_1) | instskip(SKIP_1) | instid1(VALU_DEP_1)
	v_sub_nc_u32_e32 v10, v6, v8
	s_wait_alu 0xfffd
	v_subrev_co_ci_u32_e64 v10, s2, s19, v10, vcc_lo
	v_add_co_u32 v11, s2, v4, 2
	s_wait_alu 0xf1ff
	v_add_co_ci_u32_e64 v12, s2, 0, v9, s2
	v_sub_co_u32 v13, s2, v7, s18
	v_sub_co_ci_u32_e32 v8, vcc_lo, v6, v8, vcc_lo
	s_wait_alu 0xf1ff
	v_subrev_co_ci_u32_e64 v10, s2, 0, v10, s2
	s_delay_alu instid0(VALU_DEP_3) | instskip(NEXT) | instid1(VALU_DEP_3)
	v_cmp_le_u32_e32 vcc_lo, s18, v13
	v_cmp_eq_u32_e64 s2, s19, v8
	s_wait_alu 0xfffd
	v_cndmask_b32_e64 v13, 0, -1, vcc_lo
	v_cmp_le_u32_e32 vcc_lo, s19, v10
	s_wait_alu 0xfffd
	v_cndmask_b32_e64 v14, 0, -1, vcc_lo
	v_cmp_le_u32_e32 vcc_lo, s18, v7
	;; [unrolled: 3-line block ×3, first 2 shown]
	s_wait_alu 0xfffd
	v_cndmask_b32_e64 v15, 0, -1, vcc_lo
	v_cmp_eq_u32_e32 vcc_lo, s19, v10
	s_wait_alu 0xf1ff
	s_delay_alu instid0(VALU_DEP_2)
	v_cndmask_b32_e64 v7, v15, v7, s2
	s_wait_alu 0xfffd
	v_cndmask_b32_e32 v10, v14, v13, vcc_lo
	v_add_co_u32 v13, vcc_lo, v4, 1
	s_wait_alu 0xfffd
	v_add_co_ci_u32_e32 v14, vcc_lo, 0, v9, vcc_lo
	s_delay_alu instid0(VALU_DEP_3) | instskip(SKIP_2) | instid1(VALU_DEP_3)
	v_cmp_ne_u32_e32 vcc_lo, 0, v10
	s_wait_alu 0xfffd
	v_cndmask_b32_e32 v10, v13, v11, vcc_lo
	v_cndmask_b32_e32 v8, v14, v12, vcc_lo
	v_cmp_ne_u32_e32 vcc_lo, 0, v7
	s_wait_alu 0xfffd
	s_delay_alu instid0(VALU_DEP_2)
	v_dual_cndmask_b32 v7, v4, v10 :: v_dual_cndmask_b32 v8, v9, v8
.LBB0_4:                                ;   in Loop: Header=BB0_2 Depth=1
	s_wait_alu 0xfffe
	s_and_not1_saveexec_b32 s2, s20
	s_cbranch_execz .LBB0_6
; %bb.5:                                ;   in Loop: Header=BB0_2 Depth=1
	v_cvt_f32_u32_e32 v4, s18
	s_sub_co_i32 s20, 0, s18
	s_delay_alu instid0(VALU_DEP_1) | instskip(NEXT) | instid1(TRANS32_DEP_1)
	v_rcp_iflag_f32_e32 v4, v4
	v_mul_f32_e32 v4, 0x4f7ffffe, v4
	s_delay_alu instid0(VALU_DEP_1) | instskip(SKIP_1) | instid1(VALU_DEP_1)
	v_cvt_u32_f32_e32 v4, v4
	s_wait_alu 0xfffe
	v_mul_lo_u32 v7, s20, v4
	s_delay_alu instid0(VALU_DEP_1) | instskip(NEXT) | instid1(VALU_DEP_1)
	v_mul_hi_u32 v7, v4, v7
	v_add_nc_u32_e32 v4, v4, v7
	s_delay_alu instid0(VALU_DEP_1) | instskip(NEXT) | instid1(VALU_DEP_1)
	v_mul_hi_u32 v4, v5, v4
	v_mul_lo_u32 v7, v4, s18
	v_add_nc_u32_e32 v8, 1, v4
	s_delay_alu instid0(VALU_DEP_2) | instskip(NEXT) | instid1(VALU_DEP_1)
	v_sub_nc_u32_e32 v7, v5, v7
	v_subrev_nc_u32_e32 v9, s18, v7
	v_cmp_le_u32_e32 vcc_lo, s18, v7
	s_wait_alu 0xfffd
	s_delay_alu instid0(VALU_DEP_2) | instskip(NEXT) | instid1(VALU_DEP_1)
	v_dual_cndmask_b32 v7, v7, v9 :: v_dual_cndmask_b32 v4, v4, v8
	v_cmp_le_u32_e32 vcc_lo, s18, v7
	s_delay_alu instid0(VALU_DEP_2) | instskip(SKIP_1) | instid1(VALU_DEP_1)
	v_add_nc_u32_e32 v8, 1, v4
	s_wait_alu 0xfffd
	v_dual_cndmask_b32 v7, v4, v8 :: v_dual_mov_b32 v8, v3
.LBB0_6:                                ;   in Loop: Header=BB0_2 Depth=1
	s_wait_alu 0xfffe
	s_or_b32 exec_lo, exec_lo, s2
	s_load_b64 s[20:21], s[12:13], 0x0
	s_delay_alu instid0(VALU_DEP_1)
	v_mul_lo_u32 v4, v8, s18
	v_mul_lo_u32 v11, v7, s19
	v_mad_co_u64_u32 v[9:10], null, v7, s18, 0
	s_add_nc_u64 s[16:17], s[16:17], 1
	s_add_nc_u64 s[12:13], s[12:13], 8
	s_wait_alu 0xfffe
	v_cmp_ge_u64_e64 s2, s[16:17], s[6:7]
	s_add_nc_u64 s[14:15], s[14:15], 8
	s_delay_alu instid0(VALU_DEP_2) | instskip(NEXT) | instid1(VALU_DEP_3)
	v_add3_u32 v4, v10, v11, v4
	v_sub_co_u32 v5, vcc_lo, v5, v9
	s_wait_alu 0xfffd
	s_delay_alu instid0(VALU_DEP_2) | instskip(SKIP_3) | instid1(VALU_DEP_2)
	v_sub_co_ci_u32_e32 v4, vcc_lo, v6, v4, vcc_lo
	s_and_b32 vcc_lo, exec_lo, s2
	s_wait_kmcnt 0x0
	v_mul_lo_u32 v6, s21, v5
	v_mul_lo_u32 v4, s20, v4
	v_mad_co_u64_u32 v[1:2], null, s20, v5, v[1:2]
	s_delay_alu instid0(VALU_DEP_1)
	v_add3_u32 v2, v6, v2, v4
	s_wait_alu 0xfffe
	s_cbranch_vccnz .LBB0_9
; %bb.7:                                ;   in Loop: Header=BB0_2 Depth=1
	v_dual_mov_b32 v5, v7 :: v_dual_mov_b32 v6, v8
	s_branch .LBB0_2
.LBB0_8:
	v_dual_mov_b32 v8, v6 :: v_dual_mov_b32 v7, v5
.LBB0_9:
	s_lshl_b64 s[2:3], s[6:7], 3
	v_or_b32_e32 v146, 0x80, v0
	s_wait_alu 0xfffe
	s_add_nc_u64 s[2:3], s[10:11], s[2:3]
	v_or_b32_e32 v147, 0x100, v0
	s_load_b64 s[2:3], s[2:3], 0x0
	s_load_b64 s[0:1], s[0:1], 0x20
	v_or_b32_e32 v148, 0x180, v0
	v_or_b32_e32 v149, 0x200, v0
	s_wait_kmcnt 0x0
	v_mul_lo_u32 v3, s2, v8
	v_mul_lo_u32 v4, s3, v7
	v_mad_co_u64_u32 v[1:2], null, s2, v7, v[1:2]
	v_cmp_gt_u64_e32 vcc_lo, s[0:1], v[7:8]
	v_cmp_le_u64_e64 s0, s[0:1], v[7:8]
	s_delay_alu instid0(VALU_DEP_3) | instskip(NEXT) | instid1(VALU_DEP_2)
	v_add3_u32 v2, v4, v2, v3
	s_and_saveexec_b32 s1, s0
	s_wait_alu 0xfffe
	s_xor_b32 s0, exec_lo, s1
; %bb.10:
	v_or_b32_e32 v146, 0x80, v0
	v_or_b32_e32 v147, 0x100, v0
	;; [unrolled: 1-line block ×4, first 2 shown]
; %bb.11:
	s_wait_alu 0xfffe
	s_or_saveexec_b32 s1, s0
	v_lshlrev_b64_e32 v[89:90], 4, v[1:2]
	v_lshlrev_b32_e32 v145, 4, v0
                                        ; implicit-def: $vgpr39_vgpr40
                                        ; implicit-def: $vgpr79_vgpr80
                                        ; implicit-def: $vgpr27_vgpr28
                                        ; implicit-def: $vgpr15_vgpr16
                                        ; implicit-def: $vgpr3_vgpr4
                                        ; implicit-def: $vgpr19_vgpr20
                                        ; implicit-def: $vgpr35_vgpr36
                                        ; implicit-def: $vgpr55_vgpr56
                                        ; implicit-def: $vgpr51_vgpr52
                                        ; implicit-def: $vgpr59_vgpr60
                                        ; implicit-def: $vgpr67_vgpr68
                                        ; implicit-def: $vgpr47_vgpr48
                                        ; implicit-def: $vgpr63_vgpr64
                                        ; implicit-def: $vgpr31_vgpr32
                                        ; implicit-def: $vgpr43_vgpr44
                                        ; implicit-def: $vgpr23_vgpr24
                                        ; implicit-def: $vgpr75_vgpr76
                                        ; implicit-def: $vgpr7_vgpr8
                                        ; implicit-def: $vgpr71_vgpr72
                                        ; implicit-def: $vgpr11_vgpr12
	s_wait_alu 0xfffe
	s_xor_b32 exec_lo, exec_lo, s1
; %bb.12:
	s_delay_alu instid0(VALU_DEP_2) | instskip(SKIP_3) | instid1(VALU_DEP_3)
	v_add_co_u32 v3, s0, s8, v89
	s_wait_alu 0xf1ff
	v_add_co_ci_u32_e64 v4, s0, s9, v90, s0
	v_or_b32_e32 v1, 0x7800, v145
	v_add_co_u32 v65, s0, v3, v145
	v_or_b32_e32 v5, 0x3800, v145
	s_wait_alu 0xf1ff
	v_add_co_ci_u32_e64 v66, s0, 0, v4, s0
	v_add_co_u32 v1, s0, v3, v1
	s_wait_alu 0xf1ff
	v_add_co_ci_u32_e64 v2, s0, 0, v4, s0
	v_add_co_u32 v3, s0, v3, v5
	s_wait_alu 0xf1ff
	v_add_co_ci_u32_e64 v4, s0, 0, v4, s0
	s_clause 0x13
	global_load_b128 v[9:12], v[65:66], off
	global_load_b128 v[5:8], v[65:66], off offset:2048
	global_load_b128 v[69:72], v[1:2], off
	global_load_b128 v[1:4], v[3:4], off
	global_load_b128 v[13:16], v[65:66], off offset:22528
	global_load_b128 v[17:20], v[65:66], off offset:24576
	;; [unrolled: 1-line block ×16, first 2 shown]
; %bb.13:
	s_or_b32 exec_lo, exec_lo, s1
	s_wait_loadcnt 0x9
	v_add_f64_e64 v[73:74], v[25:26], -v[73:74]
	v_add_f64_e64 v[81:82], v[5:6], -v[13:14]
	s_wait_loadcnt 0x5
	v_add_f64_e64 v[77:78], v[9:10], -v[77:78]
	v_add_f64_e64 v[69:70], v[37:38], -v[69:70]
	s_wait_loadcnt 0x3
	v_add_f64_e64 v[85:86], v[29:30], -v[53:54]
	s_wait_loadcnt 0x1
	;; [unrolled: 2-line block ×3, first 2 shown]
	v_add_f64_e64 v[61:62], v[49:50], -v[65:66]
	v_add_f64_e64 v[65:66], v[45:46], -v[57:58]
	;; [unrolled: 1-line block ×14, first 2 shown]
	v_lshl_add_u32 v150, v146, 5, 0
	v_lshl_add_u32 v151, v147, 5, 0
	;; [unrolled: 1-line block ×4, first 2 shown]
	s_mov_b32 s2, 0x134454ff
	v_mad_i32_i24 v155, 0xffffffe8, v146, v150
	v_mad_i32_i24 v156, 0xffffffe8, v147, v151
	;; [unrolled: 1-line block ×4, first 2 shown]
	s_mov_b32 s3, 0xbfee6f0e
	s_mov_b32 s1, 0x3fee6f0e
	s_wait_alu 0xfffe
	s_mov_b32 s0, s2
	s_mov_b32 s10, 0x4755a5e
	;; [unrolled: 1-line block ×7, first 2 shown]
	v_fma_f64 v[25:26], v[25:26], 2.0, -v[73:74]
	v_fma_f64 v[5:6], v[5:6], 2.0, -v[81:82]
	;; [unrolled: 1-line block ×20, first 2 shown]
	v_add_f64_e32 v[3:4], v[13:14], v[77:78]
	v_add_f64_e32 v[13:14], v[15:16], v[83:84]
	s_mov_b32 s18, 0x9b97f4a8
	s_mov_b32 s19, 0x3fe9e377
	;; [unrolled: 1-line block ×5, first 2 shown]
	s_wait_alu 0xfffe
	s_mov_b32 s16, s18
	v_add_f64_e64 v[7:8], v[5:6], -v[25:26]
	v_add_f64_e64 v[25:26], v[71:72], -v[69:70]
	;; [unrolled: 1-line block ×3, first 2 shown]
	v_add_f64_e32 v[9:10], v[17:18], v[81:82]
	v_add_f64_e32 v[17:18], v[19:20], v[85:86]
	v_add_f64_e64 v[15:16], v[59:60], -v[29:30]
	v_add_f64_e64 v[19:20], v[63:64], -v[33:34]
	;; [unrolled: 1-line block ×4, first 2 shown]
	v_add_f64_e32 v[21:22], v[43:44], v[65:66]
	v_add_f64_e64 v[23:24], v[67:68], -v[37:38]
	v_add_f64_e64 v[33:34], v[79:80], -v[41:42]
	;; [unrolled: 1-line block ×8, first 2 shown]
	v_fma_f64 v[45:46], v[77:78], 2.0, -v[3:4]
	v_fma_f64 v[53:54], v[83:84], 2.0, -v[13:14]
	;; [unrolled: 1-line block ×3, first 2 shown]
	v_and_b32_e32 v6, 3, v0
	v_fma_f64 v[43:44], v[55:56], 2.0, -v[1:2]
	v_fma_f64 v[49:50], v[81:82], 2.0, -v[9:10]
	v_lshl_add_u32 v5, v0, 5, 0
	v_fma_f64 v[55:56], v[59:60], 2.0, -v[15:16]
	v_fma_f64 v[59:60], v[63:64], 2.0, -v[19:20]
	v_mul_u32_u24_e32 v63, 3, v6
	v_fma_f64 v[69:70], v[75:76], 2.0, -v[29:30]
	v_fma_f64 v[61:62], v[65:66], 2.0, -v[21:22]
	;; [unrolled: 1-line block ×4, first 2 shown]
	v_lshlrev_b32_e32 v101, 4, v63
	v_fma_f64 v[63:64], v[67:68], 2.0, -v[23:24]
	v_fma_f64 v[67:68], v[93:94], 2.0, -v[27:28]
	;; [unrolled: 1-line block ×9, first 2 shown]
	v_mad_i32_i24 v154, 0xffffffe8, v0, v5
	ds_store_b128 v5, v[1:4] offset:16
	ds_store_b128 v5, v[43:46]
	ds_store_b128 v150, v[7:10] offset:16
	ds_store_b128 v150, v[47:50]
	;; [unrolled: 2-line block ×5, first 2 shown]
	global_wb scope:SCOPE_SE
	s_wait_dscnt 0x0
	s_barrier_signal -1
	s_barrier_wait -1
	global_inv scope:SCOPE_SE
	ds_load_2addr_stride64_b64 v[1:4], v154 offset1:10
	ds_load_2addr_stride64_b64 v[7:10], v154 offset0:20 offset1:22
	ds_load_2addr_stride64_b64 v[11:14], v154 offset0:28 offset1:30
	ds_load_b64 v[83:84], v155
	ds_load_b64 v[85:86], v156
	;; [unrolled: 1-line block ×4, first 2 shown]
	ds_load_2addr_stride64_b64 v[15:18], v154 offset0:12 offset1:14
	ds_load_2addr_stride64_b64 v[19:22], v154 offset0:32 offset1:34
	;; [unrolled: 1-line block ×5, first 2 shown]
	global_wb scope:SCOPE_SE
	s_wait_dscnt 0x0
	s_barrier_signal -1
	s_barrier_wait -1
	global_inv scope:SCOPE_SE
	ds_store_b128 v5, v[63:66]
	ds_store_b128 v5, v[23:26] offset:16
	ds_store_b128 v150, v[67:70]
	ds_store_b128 v150, v[27:30] offset:16
	;; [unrolled: 2-line block ×5, first 2 shown]
	global_wb scope:SCOPE_SE
	s_wait_dscnt 0x0
	s_barrier_signal -1
	s_barrier_wait -1
	global_inv scope:SCOPE_SE
	s_clause 0x2
	global_load_b128 v[23:26], v101, s[4:5] offset:16
	global_load_b128 v[27:30], v101, s[4:5] offset:32
	global_load_b128 v[31:34], v101, s[4:5]
	ds_load_2addr_stride64_b64 v[35:38], v154 offset0:20 offset1:22
	ds_load_2addr_stride64_b64 v[39:42], v154 offset0:24 offset1:26
	;; [unrolled: 1-line block ×4, first 2 shown]
	ds_load_2addr_stride64_b64 v[63:66], v154 offset1:10
	ds_load_2addr_stride64_b64 v[67:70], v154 offset0:12 offset1:14
	ds_load_2addr_stride64_b64 v[71:74], v154 offset0:36 offset1:38
	;; [unrolled: 1-line block ×3, first 2 shown]
	s_wait_loadcnt_dscnt 0x206
	v_mul_f64_e32 v[93:94], v[39:40], v[25:26]
	v_mul_f64_e32 v[95:96], v[41:42], v[25:26]
	s_wait_loadcnt_dscnt 0x101
	v_mul_f64_e32 v[107:108], v[71:72], v[29:30]
	v_mul_f64_e32 v[111:112], v[73:74], v[29:30]
	s_wait_loadcnt_dscnt 0x0
	v_mul_f64_e32 v[113:114], v[75:76], v[33:34]
	v_mul_f64_e32 v[117:118], v[77:78], v[33:34]
	v_mul_f64_e32 v[79:80], v[35:36], v[25:26]
	v_mul_f64_e32 v[81:82], v[37:38], v[25:26]
	;; [unrolled: 1-line block ×24, first 2 shown]
	v_fma_f64 v[43:44], v[43:44], v[23:24], v[93:94]
	v_fma_f64 v[45:46], v[45:46], v[23:24], v[95:96]
	;; [unrolled: 1-line block ×15, first 2 shown]
	v_fma_f64 v[35:36], v[35:36], v[23:24], -v[119:120]
	v_fma_f64 v[61:62], v[61:62], v[27:28], -v[127:128]
	v_fma_f64 v[65:66], v[65:66], v[31:32], -v[137:138]
	v_fma_f64 v[37:38], v[37:38], v[23:24], -v[121:122]
	v_fma_f64 v[55:56], v[55:56], v[27:28], -v[129:130]
	v_fma_f64 v[67:68], v[67:68], v[31:32], -v[135:136]
	v_fma_f64 v[57:58], v[57:58], v[27:28], -v[131:132]
	v_fma_f64 v[71:72], v[71:72], v[27:28], -v[133:134]
	v_fma_f64 v[27:28], v[73:74], v[27:28], -v[29:30]
	v_fma_f64 v[69:70], v[69:70], v[31:32], -v[139:140]
	v_fma_f64 v[75:76], v[75:76], v[31:32], -v[141:142]
	v_fma_f64 v[29:30], v[77:78], v[31:32], -v[33:34]
	v_fma_f64 v[31:32], v[39:40], v[23:24], -v[123:124]
	v_fma_f64 v[33:34], v[41:42], v[23:24], -v[125:126]
	v_fma_f64 v[23:24], v[59:60], v[23:24], -v[25:26]
	v_add_f64_e64 v[25:26], v[85:86], -v[43:44]
	v_add_f64_e64 v[39:40], v[87:88], -v[45:46]
	;; [unrolled: 1-line block ×4, first 2 shown]
	ds_load_b64 v[45:46], v155
	ds_load_b64 v[51:52], v156
	;; [unrolled: 1-line block ×4, first 2 shown]
	v_add_f64_e64 v[7:8], v[1:2], -v[7:8]
	v_add_f64_e64 v[9:10], v[83:84], -v[9:10]
	global_wb scope:SCOPE_SE
	s_wait_dscnt 0x0
	v_add_f64_e64 v[13:14], v[3:4], -v[13:14]
	v_add_f64_e64 v[19:20], v[15:16], -v[19:20]
	s_barrier_signal -1
	v_add_f64_e64 v[21:22], v[17:18], -v[21:22]
	v_add_f64_e64 v[11:12], v[91:92], -v[11:12]
	;; [unrolled: 1-line block ×3, first 2 shown]
	s_barrier_wait -1
	v_add_f64_e64 v[61:62], v[65:66], -v[61:62]
	global_inv scope:SCOPE_SE
	v_add_f64_e64 v[55:56], v[67:68], -v[55:56]
	v_add_f64_e64 v[37:38], v[45:46], -v[37:38]
	v_add_f64_e64 v[57:58], v[69:70], -v[57:58]
	v_add_f64_e64 v[71:72], v[75:76], -v[71:72]
	v_add_f64_e64 v[27:28], v[29:30], -v[27:28]
	v_add_f64_e64 v[31:32], v[51:52], -v[31:32]
	v_add_f64_e64 v[33:34], v[53:54], -v[33:34]
	v_add_f64_e64 v[23:24], v[59:60], -v[23:24]
	v_fma_f64 v[77:78], v[85:86], 2.0, -v[25:26]
	v_fma_f64 v[79:80], v[87:88], 2.0, -v[39:40]
	;; [unrolled: 1-line block ×11, first 2 shown]
	v_lshlrev_b32_e32 v3, 2, v147
	v_add_f64_e32 v[83:84], v[7:8], v[61:62]
	v_fma_f64 v[61:62], v[65:66], 2.0, -v[61:62]
	v_add_f64_e32 v[85:86], v[9:10], v[55:56]
	v_fma_f64 v[55:56], v[67:68], 2.0, -v[55:56]
	v_fma_f64 v[45:46], v[45:46], 2.0, -v[37:38]
	v_add_f64_e64 v[87:88], v[37:38], -v[19:20]
	v_fma_f64 v[65:66], v[69:70], 2.0, -v[57:58]
	v_fma_f64 v[67:68], v[75:76], 2.0, -v[71:72]
	;; [unrolled: 1-line block ×6, first 2 shown]
	v_add_f64_e64 v[75:76], v[35:36], -v[13:14]
	v_add_f64_e32 v[57:58], v[25:26], v[57:58]
	v_add_f64_e64 v[91:92], v[31:32], -v[21:22]
	v_add_f64_e32 v[71:72], v[39:40], v[71:72]
	v_add_f64_e64 v[41:42], v[33:34], -v[41:42]
	v_add_f64_e32 v[27:28], v[11:12], v[27:28]
	v_add_f64_e64 v[43:44], v[23:24], -v[43:44]
	v_add_f64_e64 v[47:48], v[79:80], -v[47:48]
	;; [unrolled: 1-line block ×3, first 2 shown]
	v_lshlrev_b32_e32 v2, 2, v146
	v_add_f64_e64 v[15:16], v[4:5], -v[15:16]
	v_add_f64_e64 v[17:18], v[77:78], -v[17:18]
	;; [unrolled: 1-line block ×3, first 2 shown]
	v_lshlrev_b32_e32 v1, 2, v0
	v_fma_f64 v[13:14], v[7:8], 2.0, -v[83:84]
	v_add_f64_e64 v[61:62], v[63:64], -v[61:62]
	v_and_b32_e32 v7, 15, v0
	v_fma_f64 v[8:9], v[9:10], 2.0, -v[85:86]
	v_add_f64_e64 v[55:56], v[45:46], -v[55:56]
	v_add_f64_e64 v[65:66], v[51:52], -v[65:66]
	v_add_f64_e64 v[67:68], v[53:54], -v[67:68]
	v_add_f64_e64 v[93:94], v[59:60], -v[29:30]
	v_fma_f64 v[25:26], v[25:26], 2.0, -v[57:58]
	v_fma_f64 v[95:96], v[31:32], 2.0, -v[91:92]
	;; [unrolled: 1-line block ×6, first 2 shown]
	v_and_or_b32 v12, 0x1f0, v1, v6
	v_and_or_b32 v1, 0x1c0, v1, v7
	s_delay_alu instid0(VALU_DEP_2)
	v_lshl_add_u32 v107, v12, 3, 0
	v_fma_f64 v[19:20], v[73:74], 2.0, -v[69:70]
	v_fma_f64 v[73:74], v[79:80], 2.0, -v[47:48]
	;; [unrolled: 1-line block ×3, first 2 shown]
	v_lshlrev_b32_e32 v4, 2, v148
	v_and_or_b32 v79, 0x3f0, v2, v6
	v_and_or_b32 v80, 0x5f0, v3, v6
	v_fma_f64 v[29:30], v[77:78], 2.0, -v[17:18]
	v_fma_f64 v[77:78], v[81:82], 2.0, -v[49:50]
	v_and_or_b32 v81, 0x7f0, v4, v6
	v_mul_u32_u24_e32 v82, 3, v7
	v_lshl_add_u32 v108, v79, 3, 0
	v_lshl_add_u32 v109, v80, 3, 0
	v_fma_f64 v[79:80], v[35:36], 2.0, -v[75:76]
	v_fma_f64 v[63:64], v[63:64], 2.0, -v[61:62]
	v_lshl_add_u32 v110, v81, 3, 0
	v_lshlrev_b32_e32 v111, 4, v82
	v_fma_f64 v[81:82], v[37:38], 2.0, -v[87:88]
	v_fma_f64 v[45:46], v[45:46], 2.0, -v[55:56]
	;; [unrolled: 1-line block ×5, first 2 shown]
	v_lshlrev_b32_e32 v5, 2, v149
	ds_store_2addr_b64 v107, v[69:70], v[83:84] offset0:8 offset1:12
	v_and_or_b32 v2, 0x3c0, v2, v7
	v_and_or_b32 v3, 0x5c0, v3, v7
	v_and_or_b32 v4, 0x7c0, v4, v7
	v_and_or_b32 v6, 0x9f0, v5, v6
	v_and_or_b32 v5, 0x9c0, v5, v7
	s_delay_alu instid0(VALU_DEP_2)
	v_lshl_add_u32 v6, v6, 3, 0
	ds_store_2addr_b64 v107, v[19:20], v[13:14] offset1:4
	ds_store_2addr_b64 v108, v[21:22], v[8:9] offset1:4
	ds_store_2addr_b64 v108, v[15:16], v[85:86] offset0:8 offset1:12
	ds_store_2addr_b64 v109, v[29:30], v[25:26] offset1:4
	ds_store_2addr_b64 v109, v[17:18], v[57:58] offset0:8 offset1:12
	;; [unrolled: 2-line block ×4, first 2 shown]
	global_wb scope:SCOPE_SE
	s_wait_dscnt 0x0
	s_barrier_signal -1
	s_barrier_wait -1
	global_inv scope:SCOPE_SE
	ds_load_2addr_stride64_b64 v[8:11], v154 offset1:10
	ds_load_2addr_stride64_b64 v[12:15], v154 offset0:20 offset1:22
	ds_load_2addr_stride64_b64 v[16:19], v154 offset0:28 offset1:30
	ds_load_b64 v[84:85], v155
	ds_load_b64 v[101:102], v156
	;; [unrolled: 1-line block ×4, first 2 shown]
	ds_load_2addr_stride64_b64 v[20:23], v154 offset0:12 offset1:14
	ds_load_2addr_stride64_b64 v[24:27], v154 offset0:32 offset1:34
	;; [unrolled: 1-line block ×5, first 2 shown]
	global_wb scope:SCOPE_SE
	s_wait_dscnt 0x0
	s_barrier_signal -1
	s_barrier_wait -1
	global_inv scope:SCOPE_SE
	ds_store_2addr_b64 v107, v[63:64], v[79:80] offset1:4
	ds_store_2addr_b64 v107, v[61:62], v[75:76] offset0:8 offset1:12
	ds_store_2addr_b64 v108, v[45:46], v[81:82] offset1:4
	ds_store_2addr_b64 v108, v[55:56], v[87:88] offset0:8 offset1:12
	;; [unrolled: 2-line block ×5, first 2 shown]
	global_wb scope:SCOPE_SE
	s_wait_dscnt 0x0
	s_barrier_signal -1
	s_barrier_wait -1
	global_inv scope:SCOPE_SE
	s_clause 0x2
	global_load_b128 v[40:43], v111, s[4:5] offset:208
	global_load_b128 v[44:47], v111, s[4:5] offset:224
	;; [unrolled: 1-line block ×3, first 2 shown]
	ds_load_2addr_stride64_b64 v[52:55], v154 offset0:20 offset1:22
	ds_load_2addr_stride64_b64 v[56:59], v154 offset0:24 offset1:26
	;; [unrolled: 1-line block ×3, first 2 shown]
	ds_load_2addr_stride64_b64 v[64:67], v154 offset1:10
	ds_load_2addr_stride64_b64 v[68:71], v154 offset0:32 offset1:34
	ds_load_2addr_stride64_b64 v[72:75], v154 offset0:12 offset1:14
	;; [unrolled: 1-line block ×4, first 2 shown]
	s_wait_loadcnt_dscnt 0x207
	v_mul_f64_e32 v[86:87], v[52:53], v[42:43]
	s_wait_loadcnt_dscnt 0x105
	v_mul_f64_e32 v[97:98], v[62:63], v[46:47]
	;; [unrolled: 2-line block ×3, first 2 shown]
	v_mul_f64_e32 v[125:126], v[12:13], v[42:43]
	v_mul_f64_e32 v[133:134], v[18:19], v[46:47]
	;; [unrolled: 1-line block ×4, first 2 shown]
	s_wait_dscnt 0x3
	v_mul_f64_e32 v[109:110], v[68:69], v[46:47]
	s_wait_dscnt 0x2
	v_mul_f64_e32 v[111:112], v[72:73], v[50:51]
	v_mul_f64_e32 v[127:128], v[14:15], v[42:43]
	v_mul_f64_e32 v[135:136], v[24:25], v[46:47]
	v_mul_f64_e32 v[143:144], v[20:21], v[50:51]
	v_mul_f64_e32 v[93:94], v[56:57], v[42:43]
	v_mul_f64_e32 v[113:114], v[70:71], v[46:47]
	v_mul_f64_e32 v[115:116], v[74:75], v[50:51]
	s_wait_dscnt 0x1
	v_mul_f64_e32 v[117:118], v[76:77], v[46:47]
	s_wait_dscnt 0x0
	v_mul_f64_e32 v[119:120], v[80:81], v[50:51]
	v_mul_f64_e32 v[121:122], v[78:79], v[46:47]
	;; [unrolled: 1-line block ×14, first 2 shown]
	v_fma_f64 v[12:13], v[12:13], v[40:41], v[86:87]
	v_fma_f64 v[18:19], v[18:19], v[44:45], v[97:98]
	;; [unrolled: 1-line block ×3, first 2 shown]
	v_fma_f64 v[52:53], v[52:53], v[40:41], -v[125:126]
	v_fma_f64 v[62:63], v[62:63], v[44:45], -v[133:134]
	;; [unrolled: 1-line block ×3, first 2 shown]
	v_fma_f64 v[14:15], v[14:15], v[40:41], v[91:92]
	v_fma_f64 v[24:25], v[24:25], v[44:45], v[109:110]
	;; [unrolled: 1-line block ×3, first 2 shown]
	v_fma_f64 v[54:55], v[54:55], v[40:41], -v[127:128]
	v_fma_f64 v[68:69], v[68:69], v[44:45], -v[135:136]
	;; [unrolled: 1-line block ×3, first 2 shown]
	v_fma_f64 v[28:29], v[28:29], v[40:41], v[93:94]
	v_fma_f64 v[26:27], v[26:27], v[44:45], v[113:114]
	v_fma_f64 v[22:23], v[22:23], v[48:49], v[115:116]
	v_fma_f64 v[36:37], v[36:37], v[44:45], v[117:118]
	v_fma_f64 v[32:33], v[32:33], v[48:49], v[119:120]
	v_fma_f64 v[38:39], v[38:39], v[44:45], v[121:122]
	v_fma_f64 v[34:35], v[34:35], v[48:49], v[123:124]
	v_fma_f64 v[70:71], v[70:71], v[44:45], -v[137:138]
	v_fma_f64 v[76:77], v[76:77], v[44:45], -v[139:140]
	;; [unrolled: 1-line block ×7, first 2 shown]
	v_fma_f64 v[30:31], v[30:31], v[40:41], v[95:96]
	v_fma_f64 v[50:51], v[58:59], v[40:41], -v[131:132]
	v_fma_f64 v[16:17], v[16:17], v[40:41], v[99:100]
	v_fma_f64 v[40:41], v[60:61], v[40:41], -v[42:43]
	ds_load_b64 v[42:43], v155
	ds_load_b64 v[56:57], v156
	;; [unrolled: 1-line block ×4, first 2 shown]
	v_and_b32_e32 v159, 63, v0
	global_wb scope:SCOPE_SE
	s_wait_dscnt 0x0
	s_barrier_signal -1
	s_barrier_wait -1
	global_inv scope:SCOPE_SE
	v_mul_u32_u24_e32 v6, 9, v159
	v_add_f64_e64 v[12:13], v[8:9], -v[12:13]
	v_add_f64_e64 v[18:19], v[10:11], -v[18:19]
	;; [unrolled: 1-line block ×20, first 2 shown]
	v_fma_f64 v[8:9], v[8:9], 2.0, -v[12:13]
	v_fma_f64 v[10:11], v[10:11], 2.0, -v[18:19]
	;; [unrolled: 1-line block ×3, first 2 shown]
	v_add_f64_e32 v[91:92], v[12:13], v[62:63]
	v_fma_f64 v[62:63], v[66:67], 2.0, -v[62:63]
	v_fma_f64 v[78:79], v[84:85], 2.0, -v[14:15]
	;; [unrolled: 1-line block ×6, first 2 shown]
	v_add_f64_e32 v[93:94], v[14:15], v[68:69]
	v_fma_f64 v[22:23], v[22:23], 2.0, -v[26:27]
	v_fma_f64 v[32:33], v[32:33], 2.0, -v[36:37]
	;; [unrolled: 1-line block ×11, first 2 shown]
	v_add_f64_e32 v[74:75], v[30:31], v[76:77]
	v_add_f64_e64 v[76:77], v[52:53], -v[18:19]
	v_add_f64_e64 v[80:81], v[54:55], -v[24:25]
	v_add_f64_e32 v[70:71], v[28:29], v[70:71]
	v_add_f64_e64 v[99:100], v[48:49], -v[26:27]
	v_add_f64_e64 v[36:37], v[50:51], -v[36:37]
	;; [unrolled: 3-line block ×3, first 2 shown]
	v_fma_f64 v[12:13], v[12:13], 2.0, -v[91:92]
	v_add_f64_e64 v[62:63], v[64:65], -v[62:63]
	v_add_f64_e64 v[20:21], v[78:79], -v[20:21]
	;; [unrolled: 1-line block ×3, first 2 shown]
	v_fma_f64 v[14:15], v[14:15], 2.0, -v[93:94]
	v_add_f64_e64 v[22:23], v[82:83], -v[22:23]
	v_add_f64_e64 v[101:102], v[56:57], -v[68:69]
	;; [unrolled: 1-line block ×6, first 2 shown]
	v_lshl_add_u32 v73, v1, 3, 0
	v_fma_f64 v[52:53], v[52:53], 2.0, -v[76:77]
	v_fma_f64 v[54:55], v[54:55], 2.0, -v[80:81]
	;; [unrolled: 1-line block ×9, first 2 shown]
	ds_store_2addr_b64 v73, v[10:11], v[91:92] offset0:32 offset1:48
	v_fma_f64 v[64:65], v[64:65], 2.0, -v[62:63]
	v_fma_f64 v[18:19], v[78:79], 2.0, -v[20:21]
	v_lshl_add_u32 v78, v2, 3, 0
	v_lshl_add_u32 v79, v3, 3, 0
	v_fma_f64 v[42:43], v[42:43], 2.0, -v[66:67]
	v_fma_f64 v[26:27], v[82:83], 2.0, -v[22:23]
	v_lshl_add_u32 v82, v4, 3, 0
	v_lshl_add_u32 v83, v5, 3, 0
	v_fma_f64 v[56:57], v[56:57], 2.0, -v[101:102]
	v_fma_f64 v[30:31], v[84:85], 2.0, -v[32:33]
	;; [unrolled: 1-line block ×5, first 2 shown]
	v_lshlrev_b32_e32 v84, 4, v6
	ds_store_2addr_b64 v73, v[8:9], v[12:13] offset1:16
	ds_store_2addr_b64 v78, v[18:19], v[14:15] offset1:16
	ds_store_2addr_b64 v78, v[20:21], v[93:94] offset0:32 offset1:48
	ds_store_2addr_b64 v79, v[26:27], v[24:25] offset1:16
	ds_store_2addr_b64 v79, v[22:23], v[70:71] offset0:32 offset1:48
	;; [unrolled: 2-line block ×4, first 2 shown]
	global_wb scope:SCOPE_SE
	s_wait_dscnt 0x0
	s_barrier_signal -1
	s_barrier_wait -1
	global_inv scope:SCOPE_SE
	ds_load_2addr_stride64_b64 v[1:4], v154 offset1:6
	ds_load_2addr_stride64_b64 v[69:72], v154 offset0:10 offset1:12
	ds_load_2addr_stride64_b64 v[25:28], v154 offset0:14 offset1:16
	ds_load_2addr_stride64_b64 v[21:24], v154 offset0:18 offset1:20
	ds_load_b64 v[93:94], v158
	ds_load_b64 v[95:96], v156
	ds_load_b64 v[91:92], v155
	ds_load_b64 v[97:98], v154 offset:19456
	ds_load_2addr_stride64_b64 v[5:8], v154 offset0:22 offset1:24
	ds_load_2addr_stride64_b64 v[17:20], v154 offset0:26 offset1:28
	;; [unrolled: 1-line block ×4, first 2 shown]
	global_wb scope:SCOPE_SE
	s_wait_dscnt 0x0
	s_barrier_signal -1
	s_barrier_wait -1
	global_inv scope:SCOPE_SE
	ds_store_2addr_b64 v73, v[64:65], v[52:53] offset1:16
	ds_store_2addr_b64 v73, v[62:63], v[76:77] offset0:32 offset1:48
	ds_store_2addr_b64 v78, v[42:43], v[54:55] offset1:16
	ds_store_2addr_b64 v78, v[66:67], v[80:81] offset0:32 offset1:48
	;; [unrolled: 2-line block ×5, first 2 shown]
	global_wb scope:SCOPE_SE
	s_wait_dscnt 0x0
	s_barrier_signal -1
	s_barrier_wait -1
	global_inv scope:SCOPE_SE
	s_clause 0x8
	global_load_b128 v[29:32], v84, s[4:5] offset:992
	global_load_b128 v[99:102], v84, s[4:5] offset:976
	;; [unrolled: 1-line block ×9, first 2 shown]
	ds_load_2addr_stride64_b64 v[160:163], v154 offset0:10 offset1:12
	ds_load_b64 v[103:104], v158
	ds_load_2addr_stride64_b64 v[61:64], v154 offset0:14 offset1:16
	ds_load_2addr_stride64_b64 v[65:68], v154 offset0:18 offset1:20
	;; [unrolled: 1-line block ×3, first 2 shown]
	ds_load_b64 v[107:108], v156
	ds_load_2addr_stride64_b64 v[77:80], v154 offset0:30 offset1:32
	ds_load_2addr_stride64_b64 v[81:84], v154 offset0:26 offset1:28
	;; [unrolled: 1-line block ×3, first 2 shown]
	s_wait_loadcnt_dscnt 0x808
	v_mul_f64_e32 v[105:106], v[162:163], v[31:32]
	s_wait_loadcnt 0x7
	v_mul_f64_e32 v[109:110], v[160:161], v[101:102]
	s_wait_dscnt 0x7
	v_mul_f64_e32 v[141:142], v[103:104], v[101:102]
	v_mul_f64_e32 v[143:144], v[93:94], v[101:102]
	;; [unrolled: 1-line block ×3, first 2 shown]
	s_wait_loadcnt_dscnt 0x606
	v_mul_f64_e32 v[135:136], v[63:64], v[35:36]
	s_wait_loadcnt_dscnt 0x505
	v_mul_f64_e32 v[131:132], v[67:68], v[39:40]
	v_mul_f64_e32 v[133:134], v[65:66], v[35:36]
	;; [unrolled: 1-line block ×5, first 2 shown]
	s_wait_loadcnt_dscnt 0x404
	v_mul_f64_e32 v[117:118], v[75:76], v[43:44]
	s_wait_loadcnt_dscnt 0x302
	v_mul_f64_e32 v[121:122], v[79:80], v[55:56]
	v_mul_f64_e32 v[166:167], v[71:72], v[31:32]
	s_wait_loadcnt_dscnt 0x201
	v_mul_f64_e32 v[119:120], v[83:84], v[51:52]
	v_mul_f64_e32 v[111:112], v[7:8], v[43:44]
	;; [unrolled: 1-line block ×3, first 2 shown]
	s_wait_loadcnt_dscnt 0x100
	v_mul_f64_e32 v[115:116], v[87:88], v[59:60]
	v_mul_f64_e32 v[123:124], v[81:82], v[43:44]
	;; [unrolled: 1-line block ×7, first 2 shown]
	v_fma_f64 v[105:106], v[71:72], v[29:30], v[105:106]
	v_fma_f64 v[35:36], v[69:70], v[99:100], v[109:110]
	ds_load_b64 v[109:110], v154 offset:19456
	v_fma_f64 v[93:94], v[93:94], v[99:100], v[141:142]
	v_fma_f64 v[101:102], v[103:104], v[99:100], -v[143:144]
	v_mul_f64_e32 v[141:142], v[19:20], v[51:52]
	v_mul_f64_e32 v[143:144], v[15:16], v[59:60]
	v_fma_f64 v[99:100], v[160:161], v[99:100], -v[164:165]
	ds_load_b64 v[160:161], v155
	v_fma_f64 v[27:28], v[27:28], v[33:34], v[135:136]
	v_mul_f64_e32 v[135:136], v[73:74], v[39:40]
	v_mul_f64_e32 v[39:40], v[5:6], v[39:40]
	v_fma_f64 v[23:24], v[23:24], v[37:38], v[131:132]
	v_fma_f64 v[21:22], v[21:22], v[33:34], v[133:134]
	v_mul_f64_e32 v[131:132], v[77:78], v[51:52]
	v_fma_f64 v[63:64], v[63:64], v[33:34], -v[127:128]
	v_fma_f64 v[33:34], v[65:66], v[33:34], -v[129:130]
	v_mul_f64_e32 v[51:52], v[9:10], v[51:52]
	v_fma_f64 v[65:66], v[67:68], v[37:38], -v[125:126]
	v_fma_f64 v[7:8], v[7:8], v[41:42], v[117:118]
	v_fma_f64 v[11:12], v[11:12], v[53:54], v[121:122]
	ds_load_2addr_stride64_b64 v[69:72], v154 offset1:6
	s_wait_dscnt 0x2
	v_mul_f64_e32 v[67:68], v[109:110], v[59:60]
	v_fma_f64 v[103:104], v[162:163], v[29:30], -v[166:167]
	v_mul_f64_e32 v[59:60], v[97:98], v[59:60]
	v_fma_f64 v[19:20], v[19:20], v[49:50], v[119:120]
	s_wait_loadcnt 0x0
	v_mul_f64_e32 v[117:118], v[107:108], v[47:48]
	v_mul_f64_e32 v[119:120], v[95:96], v[47:48]
	v_fma_f64 v[75:76], v[75:76], v[41:42], -v[111:112]
	v_fma_f64 v[79:80], v[79:80], v[53:54], -v[113:114]
	v_fma_f64 v[15:16], v[15:16], v[57:58], v[115:116]
	v_fma_f64 v[17:18], v[17:18], v[41:42], v[123:124]
	;; [unrolled: 1-line block ×4, first 2 shown]
	v_fma_f64 v[41:42], v[81:82], v[41:42], -v[43:44]
	v_fma_f64 v[43:44], v[85:86], v[53:54], -v[55:56]
	;; [unrolled: 1-line block ×3, first 2 shown]
	v_lshrrev_b32_e32 v166, 6, v0
	v_lshrrev_b32_e32 v167, 6, v146
	global_wb scope:SCOPE_SE
	s_wait_dscnt 0x0
	s_barrier_signal -1
	v_mul_f64_e32 v[111:112], v[71:72], v[47:48]
	v_mul_f64_e32 v[47:48], v[3:4], v[47:48]
	v_fma_f64 v[83:84], v[83:84], v[49:50], -v[141:142]
	v_fma_f64 v[87:88], v[87:88], v[57:58], -v[143:144]
	v_mul_u32_u24_e32 v166, 0x280, v166
	v_mul_lo_u32 v167, 0x280, v167
	s_barrier_wait -1
	v_fma_f64 v[5:6], v[5:6], v[37:38], v[135:136]
	v_fma_f64 v[31:32], v[73:74], v[37:38], -v[39:40]
	v_add_f64_e64 v[85:86], v[105:106], -v[23:24]
	v_add_f64_e64 v[127:128], v[35:36], -v[21:22]
	v_fma_f64 v[9:10], v[9:10], v[49:50], v[131:132]
	v_add_f64_e64 v[121:122], v[63:64], -v[101:102]
	v_add_f64_e64 v[131:132], v[21:22], -v[35:36]
	v_fma_f64 v[37:38], v[77:78], v[49:50], -v[51:52]
	v_add_f64_e64 v[77:78], v[27:28], -v[93:94]
	v_add_f64_e32 v[39:40], v[27:28], v[7:8]
	v_add_f64_e32 v[49:50], v[93:94], v[11:12]
	v_add_f64_e64 v[81:82], v[7:8], -v[11:12]
	v_fma_f64 v[51:52], v[97:98], v[57:58], v[67:68]
	v_add_f64_e64 v[113:114], v[65:66], -v[103:104]
	v_fma_f64 v[53:54], v[109:110], v[57:58], -v[59:60]
	v_add_f64_e64 v[109:110], v[103:104], -v[65:66]
	v_fma_f64 v[55:56], v[95:96], v[45:46], v[117:118]
	v_fma_f64 v[57:58], v[107:108], v[45:46], -v[119:120]
	v_add_f64_e64 v[117:118], v[101:102], -v[63:64]
	v_add_f64_e64 v[119:120], v[79:80], -v[75:76]
	;; [unrolled: 1-line block ×3, first 2 shown]
	v_add_f64_e32 v[125:126], v[105:106], v[15:16]
	v_add_f64_e64 v[95:96], v[15:16], -v[19:20]
	v_add_f64_e64 v[97:98], v[23:24], -v[105:106]
	;; [unrolled: 1-line block ×9, first 2 shown]
	v_fma_f64 v[3:4], v[3:4], v[45:46], v[111:112]
	v_fma_f64 v[45:46], v[71:72], v[45:46], -v[47:48]
	v_add_f64_e32 v[47:48], v[1:2], v[93:94]
	v_add_f64_e64 v[111:112], v[87:88], -v[83:84]
	v_add_f64_e64 v[115:116], v[83:84], -v[87:88]
	v_add_f64_e32 v[137:138], v[103:104], v[87:88]
	v_add_f64_e32 v[71:72], v[65:66], v[83:84]
	v_add_f64_e64 v[141:142], v[33:34], -v[99:100]
	v_add_f64_e64 v[143:144], v[41:42], -v[43:44]
	;; [unrolled: 1-line block ×3, first 2 shown]
	v_add_f64_e32 v[59:60], v[63:64], v[75:76]
	v_add_f64_e32 v[61:62], v[101:102], v[79:80]
	v_add_f64_e64 v[93:94], v[93:94], -v[11:12]
	v_or_b32_e32 v166, v166, v159
	global_inv scope:SCOPE_SE
	v_fma_f64 v[39:40], v[39:40], -0.5, v[1:2]
	v_fma_f64 v[1:2], v[49:50], -0.5, v[1:2]
	v_add_f64_e64 v[49:50], v[25:26], -v[5:6]
	v_add_f64_e64 v[162:163], v[51:52], -v[9:10]
	v_add_f64_e32 v[77:78], v[77:78], v[81:82]
	v_add_f64_e64 v[81:82], v[29:30], -v[31:32]
	v_add_f64_e32 v[117:118], v[117:118], v[119:120]
	;; [unrolled: 2-line block ×3, first 2 shown]
	v_fma_f64 v[123:124], v[125:126], -0.5, v[55:56]
	v_add_f64_e32 v[85:86], v[85:86], v[95:96]
	v_add_f64_e64 v[95:96], v[53:54], -v[37:38]
	v_add_f64_e32 v[97:98], v[97:98], v[107:108]
	v_add_f64_e64 v[107:108], v[31:32], -v[29:30]
	v_add_f64_e64 v[125:126], v[37:38], -v[53:54]
	v_add_f64_e32 v[127:128], v[127:128], v[129:130]
	v_add_f64_e64 v[129:130], v[23:24], -v[19:20]
	v_add_f64_e32 v[131:132], v[131:132], v[133:134]
	v_add_f64_e32 v[133:134], v[31:32], v[37:38]
	;; [unrolled: 1-line block ×3, first 2 shown]
	v_add_f64_e64 v[73:74], v[9:10], -v[51:52]
	v_add_f64_e32 v[109:110], v[109:110], v[111:112]
	v_add_f64_e32 v[111:112], v[55:56], v[105:106]
	;; [unrolled: 1-line block ×4, first 2 shown]
	v_fma_f64 v[137:138], v[137:138], -0.5, v[57:58]
	v_add_f64_e32 v[135:136], v[135:136], v[139:140]
	v_add_f64_e32 v[139:140], v[29:30], v[53:54]
	v_add_f64_e64 v[105:106], v[105:106], -v[15:16]
	v_fma_f64 v[71:72], v[71:72], -0.5, v[57:58]
	v_add_f64_e32 v[57:58], v[57:58], v[103:104]
	v_add_f64_e32 v[141:142], v[141:142], v[143:144]
	;; [unrolled: 1-line block ×3, first 2 shown]
	v_add_f64_e64 v[103:104], v[103:104], -v[87:88]
	v_fma_f64 v[59:60], v[59:60], -0.5, v[69:70]
	v_fma_f64 v[61:62], v[61:62], -0.5, v[69:70]
	v_add_f64_e32 v[69:70], v[69:70], v[101:102]
	v_add_f64_e32 v[49:50], v[49:50], v[162:163]
	;; [unrolled: 1-line block ×3, first 2 shown]
	v_add_f64_e64 v[101:102], v[101:102], -v[79:80]
	v_add_f64_e32 v[47:48], v[47:48], v[27:28]
	v_add_f64_e64 v[27:28], v[27:28], -v[7:8]
	v_add_f64_e32 v[81:82], v[81:82], v[95:96]
	v_add_f64_e32 v[95:96], v[107:108], v[125:126]
	v_fma_f64 v[133:134], v[133:134], -0.5, v[45:46]
	v_add_f64_e32 v[73:74], v[164:165], v[73:74]
	v_add_f64_e32 v[164:165], v[45:46], v[29:30]
	;; [unrolled: 1-line block ×4, first 2 shown]
	v_fma_f64 v[55:56], v[115:116], -0.5, v[55:56]
	v_fma_f64 v[115:116], v[119:120], s[0:1], v[123:124]
	v_fma_f64 v[123:124], v[119:120], s[2:3], v[123:124]
	v_add_f64_e64 v[25:26], v[25:26], -v[51:52]
	v_fma_f64 v[107:108], v[129:130], s[2:3], v[137:138]
	v_fma_f64 v[125:126], v[129:130], s[0:1], v[137:138]
	v_fma_f64 v[45:46], v[139:140], -0.5, v[45:46]
	v_fma_f64 v[137:138], v[105:106], s[0:1], v[71:72]
	v_fma_f64 v[71:72], v[105:106], s[2:3], v[71:72]
	v_add_f64_e64 v[139:140], v[5:6], -v[9:10]
	v_add_f64_e32 v[57:58], v[57:58], v[65:66]
	v_add_f64_e32 v[65:66], v[33:34], v[41:42]
	v_fma_f64 v[143:144], v[143:144], -0.5, v[3:4]
	v_add_f64_e64 v[29:30], v[29:30], -v[53:54]
	v_fma_f64 v[3:4], v[162:163], -0.5, v[3:4]
	v_add_f64_e32 v[162:163], v[99:100], v[43:44]
	v_add_f64_e32 v[69:70], v[69:70], v[63:64]
	v_add_f64_e64 v[63:64], v[63:64], -v[75:76]
	v_add_f64_e32 v[7:8], v[47:48], v[7:8]
	v_add_f64_e32 v[164:165], v[164:165], v[31:32]
	;; [unrolled: 1-line block ×5, first 2 shown]
	v_fma_f64 v[23:24], v[103:104], s[2:3], v[55:56]
	v_fma_f64 v[55:56], v[103:104], s[0:1], v[55:56]
	;; [unrolled: 1-line block ×4, first 2 shown]
	v_add_f64_e32 v[123:124], v[35:36], v[13:14]
	v_fma_f64 v[107:108], v[105:106], s[6:7], v[107:108]
	v_fma_f64 v[105:106], v[105:106], s[10:11], v[125:126]
	;; [unrolled: 1-line block ×8, first 2 shown]
	v_add_f64_e64 v[31:32], v[31:32], -v[37:38]
	v_fma_f64 v[65:66], v[65:66], -0.5, v[160:161]
	v_fma_f64 v[162:163], v[162:163], -0.5, v[160:161]
	v_add_f64_e32 v[160:161], v[160:161], v[99:100]
	v_add_f64_e64 v[99:100], v[99:100], -v[43:44]
	v_add_f64_e32 v[47:48], v[69:70], v[75:76]
	v_fma_f64 v[69:70], v[93:94], s[0:1], v[59:60]
	v_fma_f64 v[59:60], v[93:94], s[2:3], v[59:60]
	;; [unrolled: 1-line block ×4, first 2 shown]
	v_add_f64_e32 v[57:58], v[57:58], v[83:84]
	v_add_f64_e32 v[7:8], v[7:8], v[11:12]
	;; [unrolled: 1-line block ×5, first 2 shown]
	v_fma_f64 v[111:112], v[111:112], -0.5, v[91:92]
	v_fma_f64 v[23:24], v[119:120], s[10:11], v[23:24]
	v_fma_f64 v[55:56], v[119:120], s[6:7], v[55:56]
	;; [unrolled: 1-line block ×4, first 2 shown]
	v_fma_f64 v[123:124], v[123:124], -0.5, v[91:92]
	v_add_f64_e32 v[91:92], v[91:92], v[35:36]
	v_add_f64_e64 v[35:36], v[35:36], -v[13:14]
	v_fma_f64 v[125:126], v[139:140], s[6:7], v[125:126]
	v_fma_f64 v[133:134], v[139:140], s[10:11], v[133:134]
	;; [unrolled: 1-line block ×9, first 2 shown]
	v_add_f64_e32 v[160:161], v[160:161], v[33:34]
	v_add_f64_e64 v[33:34], v[33:34], -v[41:42]
	v_fma_f64 v[107:108], v[113:114], s[12:13], v[107:108]
	v_fma_f64 v[105:106], v[113:114], s[12:13], v[105:106]
	;; [unrolled: 1-line block ×7, first 2 shown]
	v_add_f64_e32 v[47:48], v[47:48], v[79:80]
	v_add_f64_e32 v[57:58], v[57:58], v[87:88]
	;; [unrolled: 1-line block ×4, first 2 shown]
	v_fma_f64 v[23:24], v[85:86], s[12:13], v[23:24]
	v_fma_f64 v[55:56], v[85:86], s[12:13], v[55:56]
	;; [unrolled: 1-line block ×4, first 2 shown]
	v_add_f64_e32 v[91:92], v[91:92], v[21:22]
	v_add_f64_e64 v[21:22], v[21:22], -v[17:18]
	v_fma_f64 v[109:110], v[81:82], s[12:13], v[125:126]
	v_fma_f64 v[81:82], v[81:82], s[12:13], v[133:134]
	;; [unrolled: 1-line block ×18, first 2 shown]
	v_mul_f64_e32 v[103:104], s[10:11], v[137:138]
	v_mul_f64_e32 v[115:116], s[10:11], v[71:72]
	v_add_f64_e32 v[41:42], v[160:161], v[41:42]
	v_mul_f64_e32 v[51:52], s[12:13], v[107:108]
	v_mul_f64_e32 v[75:76], s[14:15], v[105:106]
	s_wait_alu 0xfffe
	v_mul_f64_e32 v[71:72], s[16:17], v[71:72]
	v_fma_f64 v[11:12], v[117:118], s[12:13], v[11:12]
	v_fma_f64 v[27:28], v[121:122], s[12:13], v[27:28]
	;; [unrolled: 1-line block ×6, first 2 shown]
	v_add_f64_e32 v[17:18], v[91:92], v[17:18]
	v_fma_f64 v[95:96], v[21:22], s[2:3], v[162:163]
	v_fma_f64 v[129:130], v[21:22], s[0:1], v[162:163]
	v_mul_f64_e32 v[77:78], s[18:19], v[109:110]
	v_fma_f64 v[85:86], v[49:50], s[12:13], v[139:140]
	v_fma_f64 v[31:32], v[49:50], s[12:13], v[31:32]
	;; [unrolled: 1-line block ×4, first 2 shown]
	v_mul_f64_e32 v[49:50], s[10:11], v[109:110]
	v_fma_f64 v[45:46], v[73:74], s[12:13], v[45:46]
	v_fma_f64 v[29:30], v[33:34], s[10:11], v[29:30]
	;; [unrolled: 1-line block ×4, first 2 shown]
	v_mul_f64_e32 v[111:112], s[2:3], v[107:108]
	v_mul_f64_e32 v[113:114], s[2:3], v[105:106]
	v_fma_f64 v[99:100], v[99:100], s[6:7], v[123:124]
	v_mul_f64_e32 v[119:120], s[2:3], v[125:126]
	v_fma_f64 v[3:4], v[73:74], s[12:13], v[3:4]
	v_mul_f64_e32 v[73:74], s[2:3], v[25:26]
	v_mul_f64_e32 v[123:124], s[10:11], v[81:82]
	v_fma_f64 v[61:62], v[21:22], s[6:7], v[83:84]
	v_fma_f64 v[21:22], v[21:22], s[10:11], v[65:66]
	v_mul_f64_e32 v[83:84], s[12:13], v[125:126]
	v_mul_f64_e32 v[25:26], s[14:15], v[25:26]
	;; [unrolled: 1-line block ×3, first 2 shown]
	v_add_f64_e32 v[41:42], v[41:42], v[43:44]
	v_add_f64_e32 v[43:44], v[7:8], v[15:16]
	v_add_f64_e64 v[7:8], v[7:8], -v[15:16]
	v_or_b32_e32 v107, v167, v159
	v_add_f64_e32 v[13:14], v[17:18], v[13:14]
	v_mul_f64_e32 v[17:18], s[18:19], v[137:138]
	v_fma_f64 v[65:66], v[35:36], s[6:7], v[95:96]
	v_fma_f64 v[35:36], v[35:36], s[10:11], v[129:130]
	;; [unrolled: 1-line block ×21, first 2 shown]
	v_add_f64_e32 v[81:82], v[47:48], v[57:58]
	v_add_f64_e64 v[47:48], v[47:48], -v[57:58]
	v_add_f64_e32 v[57:58], v[41:42], v[37:38]
	v_add_f64_e64 v[41:42], v[41:42], -v[37:38]
	v_fma_f64 v[15:16], v[23:24], s[6:7], v[17:18]
	v_add_f64_e32 v[17:18], v[13:14], v[5:6]
	v_fma_f64 v[23:24], v[101:102], s[0:1], v[51:52]
	v_add_f64_e64 v[5:6], v[13:14], -v[5:6]
	v_fma_f64 v[13:14], v[97:98], s[0:1], v[75:76]
	v_fma_f64 v[51:52], v[55:56], s[6:7], v[71:72]
	;; [unrolled: 1-line block ×5, first 2 shown]
	v_add_f64_e32 v[31:32], v[69:70], v[91:92]
	v_add_f64_e32 v[75:76], v[39:40], v[67:68]
	v_add_f64_e64 v[69:70], v[69:70], -v[91:92]
	v_add_f64_e32 v[65:66], v[9:10], v[93:94]
	v_add_f64_e32 v[71:72], v[1:2], v[95:96]
	v_add_f64_e64 v[9:10], v[9:10], -v[93:94]
	v_add_f64_e64 v[1:2], v[1:2], -v[95:96]
	;; [unrolled: 1-line block ×3, first 2 shown]
	v_add_f64_e32 v[67:68], v[29:30], v[49:50]
	v_add_f64_e64 v[29:30], v[29:30], -v[49:50]
	v_add_f64_e32 v[49:50], v[63:64], v[103:104]
	v_add_f64_e32 v[77:78], v[99:100], v[73:74]
	;; [unrolled: 1-line block ×3, first 2 shown]
	v_add_f64_e64 v[63:64], v[63:64], -v[103:104]
	v_add_f64_e64 v[73:74], v[99:100], -v[73:74]
	;; [unrolled: 1-line block ×3, first 2 shown]
	v_lshl_add_u32 v105, v166, 3, 0
	v_add_f64_e32 v[101:102], v[21:22], v[25:26]
	v_lshl_add_u32 v106, v107, 3, 0
	v_add_f64_e64 v[103:104], v[21:22], -v[25:26]
	ds_store_2addr_stride64_b64 v105, v[43:44], v[31:32] offset1:1
	ds_store_2addr_stride64_b64 v105, v[65:66], v[71:72] offset0:2 offset1:3
	ds_store_2addr_stride64_b64 v105, v[75:76], v[7:8] offset0:4 offset1:5
	;; [unrolled: 1-line block ×4, first 2 shown]
	ds_store_2addr_stride64_b64 v106, v[17:18], v[67:68] offset1:1
	ds_store_2addr_stride64_b64 v106, v[49:50], v[77:78] offset0:2 offset1:3
	ds_store_2addr_stride64_b64 v106, v[79:80], v[5:6] offset0:4 offset1:5
	;; [unrolled: 1-line block ×4, first 2 shown]
	v_add_f64_e32 v[83:84], v[11:12], v[15:16]
	v_add_f64_e32 v[87:88], v[27:28], v[23:24]
	;; [unrolled: 1-line block ×4, first 2 shown]
	v_add_f64_e64 v[85:86], v[11:12], -v[15:16]
	v_add_f64_e64 v[91:92], v[27:28], -v[23:24]
	;; [unrolled: 1-line block ×4, first 2 shown]
	v_add_f64_e32 v[97:98], v[59:60], v[55:56]
	v_add_f64_e64 v[55:56], v[59:60], -v[55:56]
	v_add_f64_e32 v[59:60], v[61:62], v[45:46]
	v_add_f64_e64 v[45:46], v[61:62], -v[45:46]
	;; [unrolled: 2-line block ×3, first 2 shown]
	global_wb scope:SCOPE_SE
	s_wait_dscnt 0x0
	s_barrier_signal -1
	s_barrier_wait -1
	global_inv scope:SCOPE_SE
	ds_load_2addr_stride64_b64 v[1:4], v154 offset1:10
	ds_load_2addr_stride64_b64 v[5:8], v154 offset0:20 offset1:22
	ds_load_2addr_stride64_b64 v[29:32], v154 offset0:28 offset1:30
	;; [unrolled: 1-line block ×7, first 2 shown]
	ds_load_b64 v[33:34], v155
	ds_load_b64 v[35:36], v156
	;; [unrolled: 1-line block ×4, first 2 shown]
	global_wb scope:SCOPE_SE
	s_wait_dscnt 0x0
	s_barrier_signal -1
	s_barrier_wait -1
	global_inv scope:SCOPE_SE
	ds_store_2addr_stride64_b64 v105, v[81:82], v[83:84] offset1:1
	ds_store_2addr_stride64_b64 v105, v[87:88], v[93:94] offset0:2 offset1:3
	ds_store_2addr_stride64_b64 v105, v[95:96], v[47:48] offset0:4 offset1:5
	;; [unrolled: 1-line block ×4, first 2 shown]
	ds_store_2addr_stride64_b64 v106, v[57:58], v[97:98] offset1:1
	ds_store_2addr_stride64_b64 v106, v[59:60], v[61:62] offset0:2 offset1:3
	ds_store_2addr_stride64_b64 v106, v[101:102], v[41:42] offset0:4 offset1:5
	;; [unrolled: 1-line block ×4, first 2 shown]
	global_wb scope:SCOPE_SE
	s_wait_dscnt 0x0
	s_barrier_signal -1
	s_barrier_wait -1
	global_inv scope:SCOPE_SE
	s_and_saveexec_b32 s0, vcc_lo
	s_cbranch_execz .LBB0_15
; %bb.14:
	v_mul_i32_i24_e32 v61, 3, v149
	v_mul_u32_u24_e32 v43, 3, v0
	v_mov_b32_e32 v62, 0
	v_lshl_or_b32 v0, v0, 4, 0x3800
	s_delay_alu instid0(VALU_DEP_3) | instskip(NEXT) | instid1(VALU_DEP_3)
	v_lshlrev_b32_e32 v99, 4, v43
	v_lshlrev_b64_e32 v[41:42], 4, v[61:62]
	v_mul_i32_i24_e32 v61, 3, v148
	global_load_b128 v[49:52], v99, s[4:5] offset:10192
	v_add_co_u32 v57, vcc_lo, s4, v41
	s_wait_alu 0xfffd
	v_add_co_ci_u32_e32 v58, vcc_lo, s5, v42, vcc_lo
	global_load_b128 v[41:44], v99, s[4:5] offset:10208
	v_lshlrev_b64_e32 v[59:60], 4, v[61:62]
	v_mul_i32_i24_e32 v61, 3, v147
	s_clause 0x1
	global_load_b128 v[45:48], v[57:58], off offset:10192
	global_load_b128 v[53:56], v[57:58], off offset:10176
	v_lshlrev_b64_e32 v[63:64], 4, v[61:62]
	v_mul_i32_i24_e32 v61, 3, v146
	v_add_co_u32 v69, vcc_lo, s4, v59
	s_wait_alu 0xfffd
	v_add_co_ci_u32_e32 v70, vcc_lo, s5, v60, vcc_lo
	s_delay_alu instid0(VALU_DEP_3)
	v_lshlrev_b64_e32 v[85:86], 4, v[61:62]
	v_add_co_u32 v81, vcc_lo, s4, v63
	s_wait_alu 0xfffd
	v_add_co_ci_u32_e32 v82, vcc_lo, s5, v64, vcc_lo
	global_load_b128 v[57:60], v[57:58], off offset:10208
	v_add_co_u32 v95, vcc_lo, s4, v85
	s_wait_alu 0xfffd
	v_add_co_ci_u32_e32 v96, vcc_lo, s5, v86, vcc_lo
	s_clause 0x9
	global_load_b128 v[61:64], v[69:70], off offset:10176
	global_load_b128 v[65:68], v[69:70], off offset:10192
	;; [unrolled: 1-line block ×9, first 2 shown]
	global_load_b128 v[99:102], v99, s[4:5] offset:10176
	ds_load_2addr_stride64_b64 v[103:106], v154 offset0:28 offset1:30
	ds_load_2addr_stride64_b64 v[107:110], v154 offset0:20 offset1:22
	;; [unrolled: 1-line block ×7, first 2 shown]
	ds_load_2addr_stride64_b64 v[131:134], v154 offset1:10
	s_wait_loadcnt 0xe
	v_mul_f64_e32 v[139:140], v[5:6], v[51:52]
	s_wait_dscnt 0x6
	v_mul_f64_e32 v[51:52], v[107:108], v[51:52]
	s_wait_loadcnt 0xd
	v_mul_f64_e32 v[135:136], v[43:44], v[105:106]
	v_mul_f64_e32 v[43:44], v[31:32], v[43:44]
	s_wait_loadcnt 0xc
	v_mul_f64_e32 v[137:138], v[29:30], v[47:48]
	v_mul_f64_e32 v[47:48], v[103:104], v[47:48]
	s_wait_loadcnt_dscnt 0xb05
	v_mul_f64_e32 v[141:142], v[55:56], v[113:114]
	v_mul_f64_e32 v[55:56], v[23:24], v[55:56]
	s_wait_loadcnt_dscnt 0xa04
	v_mul_f64_e32 v[143:144], v[59:60], v[117:118]
	v_mul_f64_e32 v[59:60], v[27:28], v[59:60]
	s_wait_loadcnt 0x9
	v_mul_f64_e32 v[154:155], v[63:64], v[111:112]
	s_wait_loadcnt 0x8
	;; [unrolled: 2-line block ×3, first 2 shown]
	v_mul_f64_e32 v[158:159], v[71:72], v[115:116]
	v_mul_f64_e32 v[63:64], v[21:22], v[63:64]
	;; [unrolled: 1-line block ×3, first 2 shown]
	s_wait_loadcnt 0x6
	v_mul_f64_e32 v[160:161], v[17:18], v[75:76]
	s_wait_loadcnt_dscnt 0x502
	v_mul_f64_e32 v[162:163], v[79:80], v[125:126]
	s_wait_loadcnt_dscnt 0x401
	v_mul_f64_e32 v[164:165], v[83:84], v[129:130]
	v_mul_f64_e32 v[75:76], v[119:120], v[75:76]
	;; [unrolled: 1-line block ×5, first 2 shown]
	v_fma_f64 v[5:6], v[5:6], v[49:50], v[51:52]
	v_fma_f64 v[31:32], v[31:32], v[41:42], v[135:136]
	v_fma_f64 v[41:42], v[41:42], v[105:106], -v[43:44]
	s_wait_loadcnt 0x3
	v_mul_f64_e32 v[43:44], v[7:8], v[87:88]
	s_wait_loadcnt 0x2
	v_mul_f64_e32 v[105:106], v[93:94], v[123:124]
	v_fma_f64 v[103:104], v[45:46], v[103:104], -v[137:138]
	v_mul_f64_e32 v[93:94], v[13:14], v[93:94]
	s_wait_loadcnt 0x1
	v_mul_f64_e32 v[135:136], v[9:10], v[97:98]
	v_fma_f64 v[29:30], v[29:30], v[45:46], v[47:48]
	v_mul_f64_e32 v[45:46], v[109:110], v[87:88]
	s_wait_loadcnt 0x0
	v_mul_f64_e32 v[47:48], v[3:4], v[101:102]
	s_wait_dscnt 0x0
	v_mul_f64_e32 v[87:88], v[101:102], v[133:134]
	v_mul_f64_e32 v[97:98], v[97:98], v[127:128]
	v_mul_i32_i24_e32 v101, 0xffffffe8, v149
	v_mul_i32_i24_e32 v102, 0xffffffe8, v148
	v_mul_i32_i24_e32 v137, 0xffffffe8, v147
	v_fma_f64 v[23:24], v[23:24], v[53:54], v[141:142]
	s_delay_alu instid0(VALU_DEP_4) | instskip(NEXT) | instid1(VALU_DEP_4)
	v_add_nc_u32_e32 v138, v153, v101
	v_add_nc_u32_e32 v147, v152, v102
	v_fma_f64 v[101:102], v[49:50], v[107:108], -v[139:140]
	v_fma_f64 v[49:50], v[53:54], v[113:114], -v[55:56]
	v_fma_f64 v[27:28], v[27:28], v[57:58], v[143:144]
	v_fma_f64 v[51:52], v[57:58], v[117:118], -v[59:60]
	v_fma_f64 v[21:22], v[21:22], v[61:62], v[154:155]
	v_fma_f64 v[53:54], v[65:66], v[121:122], -v[156:157]
	v_fma_f64 v[55:56], v[61:62], v[111:112], -v[63:64]
	;; [unrolled: 1-line block ×4, first 2 shown]
	v_fma_f64 v[15:16], v[15:16], v[77:78], v[162:163]
	v_fma_f64 v[11:12], v[11:12], v[81:82], v[164:165]
	;; [unrolled: 1-line block ×3, first 2 shown]
	v_fma_f64 v[61:62], v[77:78], v[125:126], -v[79:80]
	v_fma_f64 v[63:64], v[81:82], v[129:130], -v[83:84]
	v_fma_f64 v[25:26], v[25:26], v[69:70], v[158:159]
	v_fma_f64 v[19:20], v[19:20], v[65:66], v[67:68]
	v_mul_i32_i24_e32 v71, 0xffffffe8, v146
	v_add_nc_u32_e32 v72, v151, v137
	v_add_f64_e64 v[77:78], v[1:2], -v[5:6]
	ds_load_b64 v[69:70], v147
	v_fma_f64 v[43:44], v[85:86], v[109:110], -v[43:44]
	v_fma_f64 v[13:14], v[13:14], v[91:92], v[105:106]
	v_add_nc_u32_e32 v73, v150, v71
	v_fma_f64 v[65:66], v[91:92], v[123:124], -v[93:94]
	v_fma_f64 v[67:68], v[95:96], v[127:128], -v[135:136]
	v_fma_f64 v[7:8], v[7:8], v[85:86], v[45:46]
	v_fma_f64 v[45:46], v[99:100], v[133:134], -v[47:48]
	v_fma_f64 v[3:4], v[3:4], v[99:100], v[87:88]
	v_fma_f64 v[9:10], v[9:10], v[95:96], v[97:98]
	ds_load_b64 v[47:48], v138
	ds_load_b64 v[71:72], v72
	;; [unrolled: 1-line block ×3, first 2 shown]
	v_add_f64_e64 v[75:76], v[131:132], -v[101:102]
	v_add_f64_e64 v[27:28], v[23:24], -v[27:28]
	;; [unrolled: 1-line block ×4, first 2 shown]
	s_wait_dscnt 0x3
	v_add_f64_e64 v[53:54], v[69:70], -v[53:54]
	v_add_f64_e64 v[29:30], v[55:56], -v[57:58]
	;; [unrolled: 1-line block ×4, first 2 shown]
	s_wait_dscnt 0x2
	v_add_f64_e64 v[79:80], v[47:48], -v[103:104]
	s_wait_dscnt 0x1
	v_add_f64_e64 v[59:60], v[71:72], -v[59:60]
	v_add_f64_e64 v[63:64], v[61:62], -v[63:64]
	;; [unrolled: 1-line block ×4, first 2 shown]
	v_fma_f64 v[87:88], v[1:2], 2.0, -v[77:78]
	s_wait_dscnt 0x0
	v_add_f64_e64 v[83:84], v[73:74], -v[43:44]
	v_add_f64_e64 v[17:18], v[65:66], -v[67:68]
	;; [unrolled: 1-line block ×6, first 2 shown]
	v_fma_f64 v[85:86], v[131:132], 2.0, -v[75:76]
	v_fma_f64 v[41:42], v[49:50], 2.0, -v[5:6]
	;; [unrolled: 1-line block ×6, first 2 shown]
	v_add_f64_e32 v[1:2], v[51:52], v[5:6]
	v_fma_f64 v[95:96], v[35:36], 2.0, -v[81:82]
	v_fma_f64 v[35:36], v[15:16], 2.0, -v[11:12]
	;; [unrolled: 1-line block ×7, first 2 shown]
	v_add_f64_e64 v[7:8], v[53:54], -v[19:20]
	v_add_f64_e32 v[5:6], v[57:58], v[29:30]
	v_add_f64_e64 v[11:12], v[59:60], -v[11:12]
	v_fma_f64 v[73:74], v[73:74], 2.0, -v[83:84]
	v_fma_f64 v[55:56], v[65:66], 2.0, -v[17:18]
	;; [unrolled: 1-line block ×6, first 2 shown]
	v_add_f64_e64 v[15:16], v[83:84], -v[9:10]
	v_add_f64_e32 v[13:14], v[67:68], v[17:18]
	v_add_f64_e64 v[3:4], v[79:80], -v[27:28]
	v_add_f64_e64 v[19:20], v[75:76], -v[31:32]
	v_add_f64_e32 v[17:18], v[77:78], v[25:26]
	v_add_f64_e32 v[9:10], v[81:82], v[63:64]
	v_add_f64_e64 v[21:22], v[49:50], -v[39:40]
	v_add_f64_e64 v[27:28], v[69:70], -v[43:44]
	;; [unrolled: 1-line block ×4, first 2 shown]
	v_fma_f64 v[41:42], v[51:52], 2.0, -v[1:2]
	v_add_f64_e64 v[31:32], v[71:72], -v[47:48]
	v_add_f64_e64 v[25:26], v[93:94], -v[37:38]
	v_fma_f64 v[47:48], v[53:54], 2.0, -v[7:8]
	v_fma_f64 v[51:52], v[59:60], 2.0, -v[11:12]
	v_add_f64_e64 v[35:36], v[73:74], -v[55:56]
	v_add_f64_e64 v[39:40], v[85:86], -v[33:34]
	;; [unrolled: 1-line block ×4, first 2 shown]
	v_fma_f64 v[55:56], v[83:84], 2.0, -v[15:16]
	v_fma_f64 v[53:54], v[67:68], 2.0, -v[13:14]
	;; [unrolled: 1-line block ×6, first 2 shown]
	v_add_co_u32 v83, vcc_lo, s8, v89
	s_wait_alu 0xfffd
	v_add_co_ci_u32_e32 v84, vcc_lo, s9, v90, vcc_lo
	v_fma_f64 v[61:62], v[49:50], 2.0, -v[21:22]
	v_fma_f64 v[49:50], v[81:82], 2.0, -v[9:10]
	;; [unrolled: 1-line block ×3, first 2 shown]
	v_add_co_u32 v81, vcc_lo, v83, v145
	s_wait_alu 0xfffd
	v_add_co_ci_u32_e32 v82, vcc_lo, 0, v84, vcc_lo
	v_fma_f64 v[69:70], v[95:96], 2.0, -v[29:30]
	v_fma_f64 v[63:64], v[91:92], 2.0, -v[23:24]
	v_add_co_u32 v83, vcc_lo, v83, v0
	v_fma_f64 v[71:72], v[71:72], 2.0, -v[31:32]
	v_fma_f64 v[65:66], v[93:94], 2.0, -v[25:26]
	s_wait_alu 0xfffd
	v_add_co_ci_u32_e32 v84, vcc_lo, 0, v84, vcc_lo
	v_fma_f64 v[75:76], v[73:74], 2.0, -v[35:36]
	v_fma_f64 v[79:80], v[85:86], 2.0, -v[39:40]
	;; [unrolled: 1-line block ×4, first 2 shown]
	s_clause 0x13
	global_store_b128 v[81:82], v[9:12], off offset:34816
	global_store_b128 v[81:82], v[5:8], off offset:36864
	global_store_b128 v[81:82], v[17:20], off offset:30720
	global_store_b128 v[81:82], v[13:16], off offset:32768
	global_store_b128 v[81:82], v[25:28], off offset:26624
	global_store_b128 v[81:82], v[21:24], off offset:28672
	global_store_b128 v[81:82], v[33:36], off offset:22528
	global_store_b128 v[81:82], v[29:32], off offset:24576
	global_store_b128 v[81:82], v[53:56], off offset:12288
	global_store_b128 v[81:82], v[45:48], off offset:16384
	global_store_b128 v[81:82], v[37:40], off offset:20480
	global_store_b128 v[81:82], v[41:44], off offset:18432
	global_store_b128 v[81:82], v[57:60], off offset:10240
	global_store_b128 v[81:82], v[61:64], off offset:8192
	global_store_b128 v[81:82], v[69:72], off offset:4096
	global_store_b128 v[81:82], v[65:68], off offset:6144
	global_store_b128 v[81:82], v[77:80], off
	global_store_b128 v[81:82], v[73:76], off offset:2048
	global_store_b128 v[83:84], v[49:52], off
	global_store_b128 v[81:82], v[1:4], off offset:38912
.LBB0_15:
	s_nop 0
	s_sendmsg sendmsg(MSG_DEALLOC_VGPRS)
	s_endpgm
	.section	.rodata,"a",@progbits
	.p2align	6, 0x0
	.amdhsa_kernel fft_rtc_back_len2560_factors_4_4_4_10_4_wgs_128_tpt_128_halfLds_dp_ip_CI_unitstride_sbrr_dirReg
		.amdhsa_group_segment_fixed_size 0
		.amdhsa_private_segment_fixed_size 0
		.amdhsa_kernarg_size 88
		.amdhsa_user_sgpr_count 2
		.amdhsa_user_sgpr_dispatch_ptr 0
		.amdhsa_user_sgpr_queue_ptr 0
		.amdhsa_user_sgpr_kernarg_segment_ptr 1
		.amdhsa_user_sgpr_dispatch_id 0
		.amdhsa_user_sgpr_private_segment_size 0
		.amdhsa_wavefront_size32 1
		.amdhsa_uses_dynamic_stack 0
		.amdhsa_enable_private_segment 0
		.amdhsa_system_sgpr_workgroup_id_x 1
		.amdhsa_system_sgpr_workgroup_id_y 0
		.amdhsa_system_sgpr_workgroup_id_z 0
		.amdhsa_system_sgpr_workgroup_info 0
		.amdhsa_system_vgpr_workitem_id 0
		.amdhsa_next_free_vgpr 168
		.amdhsa_next_free_sgpr 32
		.amdhsa_reserve_vcc 1
		.amdhsa_float_round_mode_32 0
		.amdhsa_float_round_mode_16_64 0
		.amdhsa_float_denorm_mode_32 3
		.amdhsa_float_denorm_mode_16_64 3
		.amdhsa_fp16_overflow 0
		.amdhsa_workgroup_processor_mode 1
		.amdhsa_memory_ordered 1
		.amdhsa_forward_progress 0
		.amdhsa_round_robin_scheduling 0
		.amdhsa_exception_fp_ieee_invalid_op 0
		.amdhsa_exception_fp_denorm_src 0
		.amdhsa_exception_fp_ieee_div_zero 0
		.amdhsa_exception_fp_ieee_overflow 0
		.amdhsa_exception_fp_ieee_underflow 0
		.amdhsa_exception_fp_ieee_inexact 0
		.amdhsa_exception_int_div_zero 0
	.end_amdhsa_kernel
	.text
.Lfunc_end0:
	.size	fft_rtc_back_len2560_factors_4_4_4_10_4_wgs_128_tpt_128_halfLds_dp_ip_CI_unitstride_sbrr_dirReg, .Lfunc_end0-fft_rtc_back_len2560_factors_4_4_4_10_4_wgs_128_tpt_128_halfLds_dp_ip_CI_unitstride_sbrr_dirReg
                                        ; -- End function
	.section	.AMDGPU.csdata,"",@progbits
; Kernel info:
; codeLenInByte = 11188
; NumSgprs: 34
; NumVgprs: 168
; ScratchSize: 0
; MemoryBound: 1
; FloatMode: 240
; IeeeMode: 1
; LDSByteSize: 0 bytes/workgroup (compile time only)
; SGPRBlocks: 4
; VGPRBlocks: 20
; NumSGPRsForWavesPerEU: 34
; NumVGPRsForWavesPerEU: 168
; Occupancy: 9
; WaveLimiterHint : 1
; COMPUTE_PGM_RSRC2:SCRATCH_EN: 0
; COMPUTE_PGM_RSRC2:USER_SGPR: 2
; COMPUTE_PGM_RSRC2:TRAP_HANDLER: 0
; COMPUTE_PGM_RSRC2:TGID_X_EN: 1
; COMPUTE_PGM_RSRC2:TGID_Y_EN: 0
; COMPUTE_PGM_RSRC2:TGID_Z_EN: 0
; COMPUTE_PGM_RSRC2:TIDIG_COMP_CNT: 0
	.text
	.p2alignl 7, 3214868480
	.fill 96, 4, 3214868480
	.type	__hip_cuid_b8fbf029c04872d7,@object ; @__hip_cuid_b8fbf029c04872d7
	.section	.bss,"aw",@nobits
	.globl	__hip_cuid_b8fbf029c04872d7
__hip_cuid_b8fbf029c04872d7:
	.byte	0                               ; 0x0
	.size	__hip_cuid_b8fbf029c04872d7, 1

	.ident	"AMD clang version 19.0.0git (https://github.com/RadeonOpenCompute/llvm-project roc-6.4.0 25133 c7fe45cf4b819c5991fe208aaa96edf142730f1d)"
	.section	".note.GNU-stack","",@progbits
	.addrsig
	.addrsig_sym __hip_cuid_b8fbf029c04872d7
	.amdgpu_metadata
---
amdhsa.kernels:
  - .args:
      - .actual_access:  read_only
        .address_space:  global
        .offset:         0
        .size:           8
        .value_kind:     global_buffer
      - .offset:         8
        .size:           8
        .value_kind:     by_value
      - .actual_access:  read_only
        .address_space:  global
        .offset:         16
        .size:           8
        .value_kind:     global_buffer
      - .actual_access:  read_only
        .address_space:  global
        .offset:         24
        .size:           8
        .value_kind:     global_buffer
      - .offset:         32
        .size:           8
        .value_kind:     by_value
      - .actual_access:  read_only
        .address_space:  global
        .offset:         40
        .size:           8
        .value_kind:     global_buffer
      - .actual_access:  read_only
        .address_space:  global
        .offset:         48
        .size:           8
        .value_kind:     global_buffer
      - .offset:         56
        .size:           4
        .value_kind:     by_value
      - .actual_access:  read_only
        .address_space:  global
        .offset:         64
        .size:           8
        .value_kind:     global_buffer
      - .actual_access:  read_only
        .address_space:  global
        .offset:         72
        .size:           8
        .value_kind:     global_buffer
      - .address_space:  global
        .offset:         80
        .size:           8
        .value_kind:     global_buffer
    .group_segment_fixed_size: 0
    .kernarg_segment_align: 8
    .kernarg_segment_size: 88
    .language:       OpenCL C
    .language_version:
      - 2
      - 0
    .max_flat_workgroup_size: 128
    .name:           fft_rtc_back_len2560_factors_4_4_4_10_4_wgs_128_tpt_128_halfLds_dp_ip_CI_unitstride_sbrr_dirReg
    .private_segment_fixed_size: 0
    .sgpr_count:     34
    .sgpr_spill_count: 0
    .symbol:         fft_rtc_back_len2560_factors_4_4_4_10_4_wgs_128_tpt_128_halfLds_dp_ip_CI_unitstride_sbrr_dirReg.kd
    .uniform_work_group_size: 1
    .uses_dynamic_stack: false
    .vgpr_count:     168
    .vgpr_spill_count: 0
    .wavefront_size: 32
    .workgroup_processor_mode: 1
amdhsa.target:   amdgcn-amd-amdhsa--gfx1201
amdhsa.version:
  - 1
  - 2
...

	.end_amdgpu_metadata
